;; amdgpu-corpus repo=ROCm/rocFFT kind=compiled arch=gfx1201 opt=O3
	.text
	.amdgcn_target "amdgcn-amd-amdhsa--gfx1201"
	.amdhsa_code_object_version 6
	.protected	bluestein_single_back_len55_dim1_dp_op_CI_CI ; -- Begin function bluestein_single_back_len55_dim1_dp_op_CI_CI
	.globl	bluestein_single_back_len55_dim1_dp_op_CI_CI
	.p2align	8
	.type	bluestein_single_back_len55_dim1_dp_op_CI_CI,@function
bluestein_single_back_len55_dim1_dp_op_CI_CI: ; @bluestein_single_back_len55_dim1_dp_op_CI_CI
; %bb.0:
	s_load_b128 s[16:19], s[0:1], 0x28
	v_mul_u32_u24_e32 v1, 0x1746, v0
	s_mov_b32 s2, exec_lo
	s_delay_alu instid0(VALU_DEP_1) | instskip(NEXT) | instid1(VALU_DEP_1)
	v_lshrrev_b32_e32 v1, 16, v1
	v_mad_co_u64_u32 v[104:105], null, ttmp9, 23, v[1:2]
	v_mov_b32_e32 v105, 0
	s_wait_kmcnt 0x0
	s_delay_alu instid0(VALU_DEP_1)
	v_cmpx_gt_u64_e64 s[16:17], v[104:105]
	s_cbranch_execz .LBB0_10
; %bb.1:
	s_clause 0x1
	s_load_b128 s[4:7], s[0:1], 0x18
	s_load_b128 s[8:11], s[0:1], 0x0
	v_mul_lo_u16 v1, v1, 11
	v_mul_hi_u32 v60, 0xb21642c9, v104
	s_load_b64 s[0:1], s[0:1], 0x38
	s_delay_alu instid0(VALU_DEP_2) | instskip(NEXT) | instid1(VALU_DEP_1)
	v_sub_nc_u16 v72, v0, v1
	v_and_b32_e32 v231, 0xffff, v72
	s_delay_alu instid0(VALU_DEP_1)
	v_lshlrev_b32_e32 v234, 4, v231
	s_wait_kmcnt 0x0
	s_load_b128 s[12:15], s[4:5], 0x0
	s_wait_kmcnt 0x0
	v_mad_co_u64_u32 v[0:1], null, s14, v104, 0
	v_mad_co_u64_u32 v[2:3], null, s12, v231, 0
	s_mul_u64 s[2:3], s[12:13], 0xb0
	s_delay_alu instid0(VALU_DEP_1) | instskip(NEXT) | instid1(VALU_DEP_1)
	v_mad_co_u64_u32 v[4:5], null, s15, v104, v[1:2]
	v_mad_co_u64_u32 v[5:6], null, s13, v231, v[3:4]
	v_mov_b32_e32 v1, v4
	s_mov_b32 s13, 0xbfee6f0e
	s_delay_alu instid0(VALU_DEP_1) | instskip(NEXT) | instid1(VALU_DEP_3)
	v_lshlrev_b64_e32 v[0:1], 4, v[0:1]
	v_mov_b32_e32 v3, v5
	s_delay_alu instid0(VALU_DEP_2) | instskip(NEXT) | instid1(VALU_DEP_2)
	v_add_co_u32 v0, vcc_lo, s18, v0
	v_lshlrev_b64_e32 v[2:3], 4, v[2:3]
	s_delay_alu instid0(VALU_DEP_4) | instskip(NEXT) | instid1(VALU_DEP_2)
	v_add_co_ci_u32_e32 v1, vcc_lo, s19, v1, vcc_lo
	v_add_co_u32 v8, vcc_lo, v0, v2
	s_wait_alu 0xfffd
	s_delay_alu instid0(VALU_DEP_2)
	v_add_co_ci_u32_e32 v9, vcc_lo, v1, v3, vcc_lo
	s_clause 0x1
	global_load_b128 v[0:3], v234, s[8:9]
	global_load_b128 v[4:7], v234, s[8:9] offset:176
	v_add_co_u32 v10, vcc_lo, v8, s2
	s_wait_alu 0xfffd
	v_add_co_ci_u32_e32 v11, vcc_lo, s3, v9, vcc_lo
	global_load_b128 v[20:23], v[8:9], off
	v_add_co_u32 v12, vcc_lo, v10, s2
	s_wait_alu 0xfffd
	v_add_co_ci_u32_e32 v13, vcc_lo, s3, v11, vcc_lo
	s_clause 0x1
	global_load_b128 v[24:27], v[10:11], off
	global_load_b128 v[28:31], v[12:13], off
	v_add_co_u32 v16, vcc_lo, v12, s2
	s_wait_alu 0xfffd
	v_add_co_ci_u32_e32 v17, vcc_lo, s3, v13, vcc_lo
	s_delay_alu instid0(VALU_DEP_2) | instskip(SKIP_1) | instid1(VALU_DEP_2)
	v_add_co_u32 v36, vcc_lo, v16, s2
	s_wait_alu 0xfffd
	v_add_co_ci_u32_e32 v37, vcc_lo, s3, v17, vcc_lo
	s_clause 0x1
	global_load_b128 v[12:15], v234, s[8:9] offset:352
	global_load_b128 v[8:11], v234, s[8:9] offset:528
	global_load_b128 v[32:35], v[16:17], off
	global_load_b128 v[16:19], v234, s[8:9] offset:704
	global_load_b128 v[36:39], v[36:37], off
	s_load_b128 s[4:7], s[6:7], 0x0
	s_mov_b32 s2, 0x134454ff
	s_mov_b32 s3, 0x3fee6f0e
	s_wait_alu 0xfffe
	s_mov_b32 s12, s2
	v_cmp_gt_u16_e32 vcc_lo, 5, v72
	s_wait_loadcnt 0x7
	v_mul_f64_e32 v[40:41], v[22:23], v[2:3]
	v_mul_f64_e32 v[42:43], v[20:21], v[2:3]
	s_wait_loadcnt 0x6
	v_mul_f64_e32 v[44:45], v[26:27], v[6:7]
	v_mul_f64_e32 v[46:47], v[24:25], v[6:7]
	;; [unrolled: 3-line block ×5, first 2 shown]
	v_fma_f64 v[20:21], v[20:21], v[0:1], v[40:41]
	v_fma_f64 v[22:23], v[22:23], v[0:1], -v[42:43]
	v_lshrrev_b32_e32 v40, 4, v60
	v_fma_f64 v[24:25], v[24:25], v[4:5], v[44:45]
	v_fma_f64 v[26:27], v[26:27], v[4:5], -v[46:47]
	s_delay_alu instid0(VALU_DEP_3)
	v_mul_lo_u32 v40, v40, 23
	v_fma_f64 v[28:29], v[28:29], v[12:13], v[48:49]
	v_fma_f64 v[30:31], v[30:31], v[12:13], -v[50:51]
	v_fma_f64 v[32:33], v[32:33], v[8:9], v[52:53]
	v_fma_f64 v[34:35], v[34:35], v[8:9], -v[54:55]
	;; [unrolled: 2-line block ×3, first 2 shown]
	v_sub_nc_u32_e32 v40, v104, v40
	s_delay_alu instid0(VALU_DEP_1) | instskip(NEXT) | instid1(VALU_DEP_1)
	v_mul_u32_u24_e32 v40, 55, v40
	v_lshlrev_b32_e32 v233, 4, v40
	s_delay_alu instid0(VALU_DEP_1)
	v_add_nc_u32_e32 v232, v234, v233
	ds_store_b128 v232, v[20:23]
	ds_store_b128 v232, v[24:27] offset:176
	ds_store_b128 v232, v[28:31] offset:352
	;; [unrolled: 1-line block ×4, first 2 shown]
	global_wb scope:SCOPE_SE
	s_wait_dscnt 0x0
	s_wait_kmcnt 0x0
	s_barrier_signal -1
	s_barrier_wait -1
	global_inv scope:SCOPE_SE
	ds_load_b128 v[20:23], v232 offset:352
	ds_load_b128 v[24:27], v232 offset:528
	;; [unrolled: 1-line block ×4, first 2 shown]
	ds_load_b128 v[36:39], v232
	global_wb scope:SCOPE_SE
	s_wait_dscnt 0x0
	s_barrier_signal -1
	s_barrier_wait -1
	global_inv scope:SCOPE_SE
	v_add_f64_e32 v[40:41], v[20:21], v[24:25]
	v_add_f64_e32 v[44:45], v[22:23], v[26:27]
	;; [unrolled: 1-line block ×5, first 2 shown]
	v_add_f64_e64 v[50:51], v[30:31], -v[34:35]
	v_add_f64_e64 v[52:53], v[22:23], -v[26:27]
	v_add_f64_e32 v[54:55], v[38:39], v[30:31]
	v_add_f64_e64 v[56:57], v[28:29], -v[32:33]
	v_add_f64_e64 v[58:59], v[32:33], -v[24:25]
	;; [unrolled: 1-line block ×7, first 2 shown]
	v_fma_f64 v[40:41], v[40:41], -0.5, v[36:37]
	v_fma_f64 v[44:45], v[44:45], -0.5, v[38:39]
	;; [unrolled: 1-line block ×3, first 2 shown]
	v_add_f64_e64 v[42:43], v[20:21], -v[24:25]
	v_fma_f64 v[38:39], v[46:47], -0.5, v[38:39]
	v_add_f64_e64 v[46:47], v[28:29], -v[20:21]
	v_add_f64_e64 v[28:29], v[20:21], -v[28:29]
	v_add_f64_e32 v[20:21], v[48:49], v[20:21]
	v_add_f64_e32 v[22:23], v[54:55], v[22:23]
	;; [unrolled: 1-line block ×4, first 2 shown]
	v_fma_f64 v[48:49], v[50:51], s[2:3], v[40:41]
	s_wait_alu 0xfffe
	v_fma_f64 v[40:41], v[50:51], s[12:13], v[40:41]
	v_fma_f64 v[54:55], v[52:53], s[12:13], v[36:37]
	;; [unrolled: 1-line block ×7, first 2 shown]
	s_mov_b32 s2, 0x4755a5e
	s_mov_b32 s3, 0x3fe2cf23
	;; [unrolled: 1-line block ×3, first 2 shown]
	s_wait_alu 0xfffe
	s_mov_b32 s12, s2
	v_add_f64_e32 v[46:47], v[46:47], v[58:59]
	v_add_f64_e32 v[58:59], v[28:29], v[60:61]
	;; [unrolled: 1-line block ×4, first 2 shown]
	v_fma_f64 v[24:25], v[52:53], s[2:3], v[48:49]
	s_wait_alu 0xfffe
	v_fma_f64 v[26:27], v[52:53], s[12:13], v[40:41]
	v_fma_f64 v[30:31], v[50:51], s[2:3], v[54:55]
	;; [unrolled: 1-line block ×7, first 2 shown]
	s_mov_b32 s2, 0x372fe950
	s_mov_b32 s3, 0x3fd3c6ef
                                        ; implicit-def: $vgpr68_vgpr69
                                        ; implicit-def: $vgpr56_vgpr57
	v_add_f64_e32 v[60:61], v[20:21], v[32:33]
	v_add_f64_e32 v[62:63], v[22:23], v[34:35]
	v_mul_lo_u16 v20, v72, 5
                                        ; implicit-def: $vgpr72_vgpr73
	s_delay_alu instid0(VALU_DEP_1) | instskip(NEXT) | instid1(VALU_DEP_1)
	v_and_b32_e32 v20, 0xffff, v20
	v_lshl_add_u32 v235, v20, 4, v233
	s_wait_alu 0xfffe
	v_fma_f64 v[28:29], v[46:47], s[2:3], v[24:25]
	v_fma_f64 v[52:53], v[46:47], s[2:3], v[26:27]
	;; [unrolled: 1-line block ×8, first 2 shown]
	v_add_co_u32 v88, s2, s8, v234
	s_wait_alu 0xf1ff
	v_add_co_ci_u32_e64 v89, null, s9, 0, s2
                                        ; implicit-def: $vgpr64_vgpr65
                                        ; implicit-def: $vgpr40_vgpr41
                                        ; implicit-def: $vgpr48_vgpr49
	ds_store_b128 v235, v[60:63]
	ds_store_b128 v235, v[28:31] offset:16
	ds_store_b128 v235, v[36:39] offset:32
	;; [unrolled: 1-line block ×4, first 2 shown]
	global_wb scope:SCOPE_SE
	s_wait_dscnt 0x0
	s_barrier_signal -1
	s_barrier_wait -1
	global_inv scope:SCOPE_SE
	s_and_saveexec_b32 s2, vcc_lo
	s_cbranch_execz .LBB0_3
; %bb.2:
	ds_load_b128 v[60:63], v232
	ds_load_b128 v[28:31], v232 offset:80
	ds_load_b128 v[36:39], v232 offset:160
	;; [unrolled: 1-line block ×10, first 2 shown]
.LBB0_3:
	s_wait_alu 0xfffe
	s_or_b32 exec_lo, exec_lo, s2
	v_and_b32_e32 v20, 0xff, v231
	s_mov_b32 s20, 0xf8bb580b
	s_mov_b32 s21, 0xbfe14ced
	;; [unrolled: 1-line block ×4, first 2 shown]
	v_mul_lo_u16 v20, 0xcd, v20
	s_mov_b32 s2, 0xd9c712b6
	s_mov_b32 s3, 0x3fda9628
	;; [unrolled: 1-line block ×4, first 2 shown]
	v_lshrrev_b16 v20, 10, v20
	s_mov_b32 s12, 0x640f44db
	s_mov_b32 s13, 0xbfc2375f
	;; [unrolled: 1-line block ×4, first 2 shown]
	v_mul_lo_u16 v20, v20, 5
	s_mov_b32 s14, 0x7f775887
	s_mov_b32 s15, 0xbfe4f49e
	;; [unrolled: 1-line block ×4, first 2 shown]
	v_sub_nc_u16 v20, v231, v20
	s_mov_b32 s16, 0x9bcd5057
	s_mov_b32 s17, 0xbfeeb42a
	;; [unrolled: 1-line block ×4, first 2 shown]
	v_mul_lo_u16 v20, v20, 10
	s_mov_b32 s31, 0x3fefac9e
	s_mov_b32 s30, s22
	;; [unrolled: 1-line block ×4, first 2 shown]
	v_and_b32_e32 v20, 0xfe, v20
	s_delay_alu instid0(VALU_DEP_1)
	v_lshlrev_b32_e32 v78, 4, v20
	s_clause 0x1
	global_load_b128 v[20:23], v78, s[10:11]
	global_load_b128 v[24:27], v78, s[10:11] offset:16
	s_wait_loadcnt_dscnt 0x109
	v_mul_f64_e32 v[32:33], v[28:29], v[22:23]
	s_delay_alu instid0(VALU_DEP_1) | instskip(SKIP_1) | instid1(VALU_DEP_1)
	v_fma_f64 v[100:101], v[30:31], v[20:21], v[32:33]
	v_mul_f64_e32 v[30:31], v[30:31], v[22:23]
	v_fma_f64 v[94:95], v[28:29], v[20:21], -v[30:31]
	s_clause 0x1
	global_load_b128 v[28:31], v78, s[10:11] offset:144
	global_load_b128 v[32:35], v78, s[10:11] offset:128
	s_wait_loadcnt_dscnt 0x100
	v_mul_f64_e32 v[76:77], v[48:49], v[30:31]
	s_delay_alu instid0(VALU_DEP_1) | instskip(SKIP_1) | instid1(VALU_DEP_2)
	v_fma_f64 v[90:91], v[50:51], v[28:29], v[76:77]
	v_mul_f64_e32 v[50:51], v[50:51], v[30:31]
	v_add_f64_e64 v[80:81], v[100:101], -v[90:91]
	s_delay_alu instid0(VALU_DEP_2) | instskip(SKIP_2) | instid1(VALU_DEP_4)
	v_fma_f64 v[92:93], v[48:49], v[28:29], -v[50:51]
	v_mul_f64_e32 v[48:49], v[36:37], v[26:27]
	v_add_f64_e32 v[151:152], v[100:101], v[90:91]
	v_mul_f64_e32 v[131:132], s[20:21], v[80:81]
	s_delay_alu instid0(VALU_DEP_4) | instskip(NEXT) | instid1(VALU_DEP_4)
	v_add_f64_e32 v[133:134], v[94:95], v[92:93]
	v_fma_f64 v[111:112], v[38:39], v[24:25], v[48:49]
	v_mul_f64_e32 v[38:39], v[38:39], v[26:27]
	v_add_f64_e64 v[84:85], v[94:95], -v[92:93]
	s_wait_alu 0xfffe
	v_mul_f64_e32 v[187:188], s[18:19], v[80:81]
	v_mul_f64_e32 v[215:216], s[22:23], v[80:81]
	;; [unrolled: 1-line block ×3, first 2 shown]
	v_fma_f64 v[113:114], v[36:37], v[24:25], -v[38:39]
	s_wait_loadcnt 0x0
	v_mul_f64_e32 v[36:37], v[40:41], v[34:35]
	v_mul_f64_e32 v[143:144], s[20:21], v[84:85]
	;; [unrolled: 1-line block ×6, first 2 shown]
	v_fma_f64 v[96:97], v[42:43], v[32:33], v[36:37]
	v_mul_f64_e32 v[36:37], v[42:43], v[34:35]
	s_delay_alu instid0(VALU_DEP_2) | instskip(NEXT) | instid1(VALU_DEP_2)
	v_add_f64_e64 v[82:83], v[111:112], -v[96:97]
	v_fma_f64 v[98:99], v[40:41], v[32:33], -v[36:37]
	s_clause 0x1
	global_load_b128 v[36:39], v78, s[10:11] offset:32
	global_load_b128 v[40:43], v78, s[10:11] offset:48
	v_add_f64_e32 v[147:148], v[111:112], v[96:97]
	v_mul_f64_e32 v[135:136], s[18:19], v[82:83]
	v_add_f64_e32 v[137:138], v[113:114], v[98:99]
	v_add_f64_e64 v[86:87], v[113:114], -v[98:99]
	v_mul_f64_e32 v[181:182], s[24:25], v[82:83]
	v_mul_f64_e32 v[209:210], s[28:29], v[82:83]
	;; [unrolled: 1-line block ×7, first 2 shown]
	s_mov_b32 s19, 0x3fed1bb4
	v_mul_f64_e32 v[225:226], s[30:31], v[86:87]
	v_mul_f64_e32 v[86:87], s[34:35], v[86:87]
	s_delay_alu instid0(VALU_DEP_2) | instskip(SKIP_2) | instid1(VALU_DEP_1)
	v_fma_f64 v[201:202], v[147:148], s[12:13], -v[225:226]
	s_wait_loadcnt 0x1
	v_mul_f64_e32 v[48:49], v[46:47], v[38:39]
	v_fma_f64 v[115:116], v[44:45], v[36:37], -v[48:49]
	v_mul_f64_e32 v[44:45], v[44:45], v[38:39]
	s_delay_alu instid0(VALU_DEP_1)
	v_fma_f64 v[117:118], v[46:47], v[36:37], v[44:45]
	s_clause 0x1
	global_load_b128 v[44:47], v78, s[10:11] offset:112
	global_load_b128 v[48:51], v78, s[10:11] offset:96
	s_wait_loadcnt 0x1
	v_mul_f64_e32 v[76:77], v[74:75], v[46:47]
	s_delay_alu instid0(VALU_DEP_1) | instskip(SKIP_2) | instid1(VALU_DEP_3)
	v_fma_f64 v[102:103], v[72:73], v[44:45], -v[76:77]
	v_mul_f64_e32 v[72:73], v[72:73], v[46:47]
	v_fma_f64 v[76:77], v[147:148], s[16:17], -v[213:214]
	v_add_f64_e32 v[145:146], v[115:116], v[102:103]
	s_delay_alu instid0(VALU_DEP_3) | instskip(SKIP_3) | instid1(VALU_DEP_4)
	v_fma_f64 v[105:106], v[74:75], v[44:45], v[72:73]
	v_mul_f64_e32 v[72:73], v[54:55], v[42:43]
	v_add_f64_e64 v[238:239], v[115:116], -v[102:103]
	v_fma_f64 v[74:75], v[137:138], s[16:17], v[209:210]
	v_add_f64_e64 v[236:237], v[117:118], -v[105:106]
	s_delay_alu instid0(VALU_DEP_4)
	v_fma_f64 v[119:120], v[52:53], v[40:41], -v[72:73]
	v_mul_f64_e32 v[52:53], v[52:53], v[42:43]
	v_add_f64_e32 v[165:166], v[117:118], v[105:106]
	v_mul_f64_e32 v[153:154], s[22:23], v[238:239]
	v_mul_f64_e32 v[177:178], s[28:29], v[238:239]
	s_wait_alu 0xfffe
	v_mul_f64_e32 v[203:204], s[18:19], v[238:239]
	v_mul_f64_e32 v[219:220], s[20:21], v[238:239]
	;; [unrolled: 1-line block ×5, first 2 shown]
	v_fma_f64 v[121:122], v[54:55], v[40:41], v[52:53]
	s_wait_loadcnt 0x0
	v_mul_f64_e32 v[52:53], v[58:59], v[50:51]
	v_mul_f64_e32 v[199:200], s[18:19], v[236:237]
	;; [unrolled: 1-line block ×4, first 2 shown]
	s_delay_alu instid0(VALU_DEP_4) | instskip(SKIP_1) | instid1(VALU_DEP_2)
	v_fma_f64 v[107:108], v[56:57], v[48:49], -v[52:53]
	v_mul_f64_e32 v[52:53], v[56:57], v[50:51]
	v_add_f64_e32 v[159:160], v[119:120], v[107:108]
	s_delay_alu instid0(VALU_DEP_2)
	v_fma_f64 v[109:110], v[58:59], v[48:49], v[52:53]
	s_clause 0x1
	global_load_b128 v[56:59], v78, s[10:11] offset:64
	global_load_b128 v[52:55], v78, s[10:11] offset:80
	s_mov_b32 s10, 0x8764f0ba
	s_mov_b32 s11, 0x3feaeb8c
	v_add_f64_e64 v[242:243], v[119:120], -v[107:108]
	v_fma_f64 v[78:79], v[137:138], s[12:13], v[223:224]
	v_fma_f64 v[82:83], v[137:138], s[10:11], -v[250:251]
	v_fma_f64 v[252:253], v[147:148], s[10:11], v[86:87]
	v_fma_f64 v[250:251], v[137:138], s[10:11], v[250:251]
	v_fma_f64 v[86:87], v[147:148], s[10:11], -v[86:87]
	v_add_f64_e64 v[240:241], v[121:122], -v[109:110]
	v_add_f64_e32 v[167:168], v[121:122], v[109:110]
	v_mul_f64_e32 v[157:158], s[24:25], v[242:243]
	v_mul_f64_e32 v[179:180], s[30:31], v[242:243]
	;; [unrolled: 1-line block ×10, first 2 shown]
	s_wait_loadcnt 0x1
	v_mul_f64_e32 v[72:73], v[66:67], v[58:59]
	s_delay_alu instid0(VALU_DEP_1) | instskip(SKIP_2) | instid1(VALU_DEP_2)
	v_fma_f64 v[127:128], v[64:65], v[56:57], -v[72:73]
	v_mul_f64_e32 v[64:65], v[64:65], v[58:59]
	v_fma_f64 v[72:73], v[147:148], s[14:15], -v[185:186]
	v_fma_f64 v[129:130], v[66:67], v[56:57], v[64:65]
	s_wait_loadcnt 0x0
	v_mul_f64_e32 v[64:65], v[70:71], v[54:55]
	v_fma_f64 v[66:67], v[137:138], s[2:3], v[135:136]
	s_delay_alu instid0(VALU_DEP_2) | instskip(SKIP_2) | instid1(VALU_DEP_3)
	v_fma_f64 v[123:124], v[68:69], v[52:53], -v[64:65]
	v_mul_f64_e32 v[64:65], v[68:69], v[54:55]
	v_fma_f64 v[68:69], v[147:148], s[2:3], -v[141:142]
	v_add_f64_e32 v[161:162], v[127:128], v[123:124]
	s_delay_alu instid0(VALU_DEP_3) | instskip(SKIP_3) | instid1(VALU_DEP_4)
	v_fma_f64 v[125:126], v[70:71], v[52:53], v[64:65]
	v_fma_f64 v[64:65], v[133:134], s[10:11], v[131:132]
	v_add_f64_e64 v[246:247], v[127:128], -v[123:124]
	v_fma_f64 v[70:71], v[137:138], s[14:15], v[181:182]
	v_add_f64_e64 v[244:245], v[129:130], -v[125:126]
	s_delay_alu instid0(VALU_DEP_4)
	v_add_f64_e32 v[64:65], v[60:61], v[64:65]
	v_add_f64_e32 v[169:170], v[129:130], v[125:126]
	v_mul_f64_e32 v[163:164], s[26:27], v[246:247]
	v_mul_f64_e32 v[183:184], s[34:35], v[246:247]
	;; [unrolled: 1-line block ×4, first 2 shown]
	v_add_f64_e32 v[64:65], v[66:67], v[64:65]
	v_fma_f64 v[66:67], v[151:152], s[10:11], -v[143:144]
	v_mul_f64_e32 v[173:174], s[34:35], v[244:245]
	v_mul_f64_e32 v[191:192], s[24:25], v[244:245]
	s_delay_alu instid0(VALU_DEP_3) | instskip(NEXT) | instid1(VALU_DEP_1)
	v_add_f64_e32 v[66:67], v[62:63], v[66:67]
	v_add_f64_e32 v[66:67], v[68:69], v[66:67]
	v_fma_f64 v[68:69], v[145:146], s[12:13], v[139:140]
	s_delay_alu instid0(VALU_DEP_1) | instskip(SKIP_1) | instid1(VALU_DEP_1)
	v_add_f64_e32 v[64:65], v[68:69], v[64:65]
	v_fma_f64 v[68:69], v[165:166], s[12:13], -v[153:154]
	v_add_f64_e32 v[66:67], v[68:69], v[66:67]
	v_fma_f64 v[68:69], v[159:160], s[14:15], v[149:150]
	s_delay_alu instid0(VALU_DEP_1) | instskip(SKIP_1) | instid1(VALU_DEP_1)
	v_add_f64_e32 v[64:65], v[68:69], v[64:65]
	v_fma_f64 v[68:69], v[167:168], s[14:15], -v[157:158]
	v_add_f64_e32 v[66:67], v[68:69], v[66:67]
	v_fma_f64 v[68:69], v[161:162], s[16:17], v[155:156]
	s_delay_alu instid0(VALU_DEP_1) | instskip(SKIP_1) | instid1(VALU_DEP_1)
	v_add_f64_e32 v[64:65], v[68:69], v[64:65]
	v_fma_f64 v[68:69], v[169:170], s[16:17], -v[163:164]
	v_add_f64_e32 v[66:67], v[68:69], v[66:67]
	v_fma_f64 v[68:69], v[133:134], s[2:3], v[187:188]
	s_delay_alu instid0(VALU_DEP_1) | instskip(NEXT) | instid1(VALU_DEP_1)
	v_add_f64_e32 v[68:69], v[60:61], v[68:69]
	v_add_f64_e32 v[68:69], v[70:71], v[68:69]
	v_fma_f64 v[70:71], v[151:152], s[2:3], -v[189:190]
	s_delay_alu instid0(VALU_DEP_1) | instskip(NEXT) | instid1(VALU_DEP_1)
	v_add_f64_e32 v[70:71], v[62:63], v[70:71]
	v_add_f64_e32 v[70:71], v[72:73], v[70:71]
	v_fma_f64 v[72:73], v[145:146], s[16:17], v[175:176]
	s_delay_alu instid0(VALU_DEP_1) | instskip(SKIP_1) | instid1(VALU_DEP_1)
	v_add_f64_e32 v[68:69], v[72:73], v[68:69]
	v_fma_f64 v[72:73], v[165:166], s[16:17], -v[177:178]
	v_add_f64_e32 v[70:71], v[72:73], v[70:71]
	v_fma_f64 v[72:73], v[159:160], s[12:13], v[171:172]
	s_delay_alu instid0(VALU_DEP_1) | instskip(SKIP_1) | instid1(VALU_DEP_1)
	v_add_f64_e32 v[68:69], v[72:73], v[68:69]
	v_fma_f64 v[72:73], v[167:168], s[12:13], -v[179:180]
	v_add_f64_e32 v[70:71], v[72:73], v[70:71]
	v_fma_f64 v[72:73], v[161:162], s[10:11], v[173:174]
	s_delay_alu instid0(VALU_DEP_1) | instskip(SKIP_1) | instid1(VALU_DEP_1)
	v_add_f64_e32 v[68:69], v[72:73], v[68:69]
	v_fma_f64 v[72:73], v[169:170], s[10:11], -v[183:184]
	v_add_f64_e32 v[70:71], v[72:73], v[70:71]
	v_fma_f64 v[72:73], v[133:134], s[12:13], v[215:216]
	s_delay_alu instid0(VALU_DEP_1) | instskip(NEXT) | instid1(VALU_DEP_1)
	v_add_f64_e32 v[72:73], v[60:61], v[72:73]
	v_add_f64_e32 v[72:73], v[74:75], v[72:73]
	v_fma_f64 v[74:75], v[151:152], s[12:13], -v[221:222]
	s_delay_alu instid0(VALU_DEP_1) | instskip(NEXT) | instid1(VALU_DEP_1)
	v_add_f64_e32 v[74:75], v[62:63], v[74:75]
	v_add_f64_e32 v[74:75], v[76:77], v[74:75]
	v_fma_f64 v[76:77], v[145:146], s[2:3], v[199:200]
	s_delay_alu instid0(VALU_DEP_1) | instskip(SKIP_1) | instid1(VALU_DEP_1)
	v_add_f64_e32 v[72:73], v[76:77], v[72:73]
	v_fma_f64 v[76:77], v[165:166], s[2:3], -v[203:204]
	v_add_f64_e32 v[74:75], v[76:77], v[74:75]
	v_fma_f64 v[76:77], v[159:160], s[10:11], v[195:196]
	s_delay_alu instid0(VALU_DEP_1) | instskip(SKIP_1) | instid1(VALU_DEP_1)
	v_add_f64_e32 v[72:73], v[76:77], v[72:73]
	v_fma_f64 v[76:77], v[167:168], s[10:11], -v[197:198]
	v_add_f64_e32 v[74:75], v[76:77], v[74:75]
	v_fma_f64 v[76:77], v[161:162], s[14:15], v[191:192]
	s_delay_alu instid0(VALU_DEP_1) | instskip(SKIP_1) | instid1(VALU_DEP_1)
	v_add_f64_e32 v[72:73], v[76:77], v[72:73]
	v_fma_f64 v[76:77], v[169:170], s[14:15], -v[193:194]
	v_add_f64_e32 v[74:75], v[76:77], v[74:75]
	v_fma_f64 v[76:77], v[133:134], s[14:15], v[227:228]
	s_delay_alu instid0(VALU_DEP_1) | instskip(NEXT) | instid1(VALU_DEP_1)
	v_add_f64_e32 v[76:77], v[60:61], v[76:77]
	v_add_f64_e32 v[76:77], v[78:79], v[76:77]
	v_fma_f64 v[78:79], v[151:152], s[14:15], -v[229:230]
	s_delay_alu instid0(VALU_DEP_1) | instskip(NEXT) | instid1(VALU_DEP_1)
	v_add_f64_e32 v[78:79], v[62:63], v[78:79]
	v_add_f64_e32 v[78:79], v[201:202], v[78:79]
	v_fma_f64 v[201:202], v[145:146], s[10:11], v[217:218]
	s_delay_alu instid0(VALU_DEP_1) | instskip(SKIP_1) | instid1(VALU_DEP_1)
	v_add_f64_e32 v[76:77], v[201:202], v[76:77]
	v_fma_f64 v[201:202], v[165:166], s[10:11], -v[219:220]
	v_add_f64_e32 v[78:79], v[201:202], v[78:79]
	v_fma_f64 v[201:202], v[159:160], s[16:17], v[207:208]
	s_delay_alu instid0(VALU_DEP_1) | instskip(SKIP_1) | instid1(VALU_DEP_1)
	v_add_f64_e32 v[76:77], v[201:202], v[76:77]
	v_fma_f64 v[201:202], v[167:168], s[16:17], -v[211:212]
	v_add_f64_e32 v[78:79], v[201:202], v[78:79]
	v_mul_f64_e32 v[201:202], s[18:19], v[244:245]
	v_mul_f64_e32 v[244:245], s[22:23], v[244:245]
	s_delay_alu instid0(VALU_DEP_2) | instskip(NEXT) | instid1(VALU_DEP_1)
	v_fma_f64 v[205:206], v[161:162], s[2:3], v[201:202]
	v_add_f64_e32 v[76:77], v[205:206], v[76:77]
	v_mul_f64_e32 v[205:206], s[18:19], v[246:247]
	v_mul_f64_e32 v[246:247], s[22:23], v[246:247]
	s_delay_alu instid0(VALU_DEP_2) | instskip(NEXT) | instid1(VALU_DEP_1)
	v_fma_f64 v[248:249], v[169:170], s[2:3], -v[205:206]
	v_add_f64_e32 v[78:79], v[248:249], v[78:79]
	v_mul_f64_e32 v[248:249], s[26:27], v[80:81]
	s_delay_alu instid0(VALU_DEP_1) | instskip(SKIP_1) | instid1(VALU_DEP_2)
	v_fma_f64 v[80:81], v[133:134], s[16:17], -v[248:249]
	v_fma_f64 v[248:249], v[133:134], s[16:17], v[248:249]
	v_add_f64_e32 v[80:81], v[60:61], v[80:81]
	s_delay_alu instid0(VALU_DEP_2) | instskip(NEXT) | instid1(VALU_DEP_2)
	v_add_f64_e32 v[248:249], v[60:61], v[248:249]
	v_add_f64_e32 v[80:81], v[82:83], v[80:81]
	v_fma_f64 v[82:83], v[151:152], s[16:17], v[84:85]
	v_fma_f64 v[84:85], v[151:152], s[16:17], -v[84:85]
	s_delay_alu instid0(VALU_DEP_4) | instskip(NEXT) | instid1(VALU_DEP_3)
	v_add_f64_e32 v[248:249], v[250:251], v[248:249]
	v_add_f64_e32 v[82:83], v[62:63], v[82:83]
	s_delay_alu instid0(VALU_DEP_3) | instskip(NEXT) | instid1(VALU_DEP_2)
	v_add_f64_e32 v[84:85], v[62:63], v[84:85]
	v_add_f64_e32 v[82:83], v[252:253], v[82:83]
	v_fma_f64 v[252:253], v[145:146], s[14:15], -v[236:237]
	s_delay_alu instid0(VALU_DEP_3) | instskip(SKIP_2) | instid1(VALU_DEP_4)
	v_add_f64_e32 v[84:85], v[86:87], v[84:85]
	v_fma_f64 v[86:87], v[145:146], s[14:15], v[236:237]
	v_fma_f64 v[236:237], v[165:166], s[14:15], -v[238:239]
	v_add_f64_e32 v[80:81], v[252:253], v[80:81]
	v_fma_f64 v[252:253], v[165:166], s[14:15], v[238:239]
	s_delay_alu instid0(VALU_DEP_4) | instskip(NEXT) | instid1(VALU_DEP_4)
	v_add_f64_e32 v[86:87], v[86:87], v[248:249]
	v_add_f64_e32 v[84:85], v[236:237], v[84:85]
	v_fma_f64 v[236:237], v[159:160], s[2:3], v[240:241]
	v_fma_f64 v[238:239], v[169:170], s[12:13], -v[246:247]
	v_add_f64_e32 v[82:83], v[252:253], v[82:83]
	v_fma_f64 v[252:253], v[159:160], s[2:3], -v[240:241]
	s_delay_alu instid0(VALU_DEP_4) | instskip(SKIP_1) | instid1(VALU_DEP_3)
	v_add_f64_e32 v[86:87], v[236:237], v[86:87]
	v_fma_f64 v[236:237], v[167:168], s[2:3], -v[242:243]
	v_add_f64_e32 v[80:81], v[252:253], v[80:81]
	v_fma_f64 v[252:253], v[167:168], s[2:3], v[242:243]
	s_delay_alu instid0(VALU_DEP_3) | instskip(SKIP_1) | instid1(VALU_DEP_3)
	v_add_f64_e32 v[236:237], v[236:237], v[84:85]
	v_fma_f64 v[84:85], v[161:162], s[12:13], v[244:245]
	v_add_f64_e32 v[82:83], v[252:253], v[82:83]
	v_fma_f64 v[252:253], v[161:162], s[12:13], -v[244:245]
	s_delay_alu instid0(VALU_DEP_3) | instskip(SKIP_1) | instid1(VALU_DEP_3)
	v_add_f64_e32 v[84:85], v[84:85], v[86:87]
	v_add_f64_e32 v[86:87], v[238:239], v[236:237]
	;; [unrolled: 1-line block ×3, first 2 shown]
	v_fma_f64 v[252:253], v[169:170], s[12:13], v[246:247]
	s_delay_alu instid0(VALU_DEP_1)
	v_add_f64_e32 v[82:83], v[252:253], v[82:83]
	s_and_saveexec_b32 s18, vcc_lo
	s_cbranch_execz .LBB0_5
; %bb.4:
	v_add_f64_e32 v[100:101], v[62:63], v[100:101]
	v_add_f64_e32 v[94:95], v[60:61], v[94:95]
	v_mul_f64_e32 v[236:237], s[2:3], v[133:134]
	v_mul_f64_e32 v[238:239], s[12:13], v[133:134]
	;; [unrolled: 1-line block ×6, first 2 shown]
	v_add_f64_e32 v[100:101], v[100:101], v[111:112]
	v_add_f64_e32 v[94:95], v[94:95], v[113:114]
	v_mul_f64_e32 v[111:112], s[14:15], v[151:152]
	v_mul_f64_e32 v[113:114], s[14:15], v[133:134]
	v_add_f64_e64 v[187:188], v[236:237], -v[187:188]
	v_add_f64_e32 v[213:214], v[213:214], v[240:241]
	v_add_f64_e32 v[185:186], v[185:186], v[244:245]
	v_add_f64_e64 v[181:182], v[246:247], -v[181:182]
	v_add_f64_e64 v[209:210], v[242:243], -v[209:210]
	v_add_f64_e32 v[100:101], v[100:101], v[117:118]
	v_add_f64_e32 v[94:95], v[94:95], v[115:116]
	v_mul_f64_e32 v[115:116], s[12:13], v[151:152]
	v_mul_f64_e32 v[117:118], s[2:3], v[151:152]
	;; [unrolled: 1-line block ×3, first 2 shown]
	v_add_f64_e32 v[111:112], v[229:230], v[111:112]
	v_add_f64_e64 v[113:114], v[113:114], -v[227:228]
	v_add_f64_e32 v[100:101], v[100:101], v[121:122]
	v_add_f64_e32 v[94:95], v[94:95], v[119:120]
	v_mul_f64_e32 v[119:120], s[10:11], v[133:134]
	v_mul_f64_e32 v[121:122], s[12:13], v[147:148]
	v_mul_f64_e32 v[133:134], s[12:13], v[137:138]
	v_mul_f64_e32 v[137:138], s[2:3], v[137:138]
	v_add_f64_e32 v[115:116], v[221:222], v[115:116]
	v_add_f64_e32 v[117:118], v[189:190], v[117:118]
	v_mul_f64_e32 v[147:148], s[2:3], v[147:148]
	v_add_f64_e64 v[189:190], v[238:239], -v[215:216]
	v_add_f64_e32 v[143:144], v[143:144], v[151:152]
	v_mul_f64_e32 v[151:152], s[16:17], v[165:166]
	v_mul_f64_e32 v[215:216], s[2:3], v[145:146]
	;; [unrolled: 1-line block ×3, first 2 shown]
	v_add_f64_e32 v[111:112], v[62:63], v[111:112]
	v_add_f64_e32 v[113:114], v[60:61], v[113:114]
	;; [unrolled: 1-line block ×4, first 2 shown]
	v_add_f64_e64 v[119:120], v[119:120], -v[131:132]
	v_mul_f64_e32 v[127:128], s[12:13], v[145:146]
	v_mul_f64_e32 v[129:130], s[12:13], v[165:166]
	;; [unrolled: 1-line block ×5, first 2 shown]
	v_add_f64_e32 v[121:122], v[225:226], v[121:122]
	v_add_f64_e64 v[133:134], v[133:134], -v[223:224]
	v_add_f64_e64 v[135:136], v[137:138], -v[135:136]
	v_add_f64_e32 v[115:116], v[62:63], v[115:116]
	v_add_f64_e32 v[117:118], v[62:63], v[117:118]
	;; [unrolled: 1-line block ×6, first 2 shown]
	v_mul_f64_e32 v[143:144], s[12:13], v[167:168]
	v_mul_f64_e32 v[187:188], s[10:11], v[159:160]
	;; [unrolled: 1-line block ×3, first 2 shown]
	v_add_f64_e32 v[203:204], v[203:204], v[221:222]
	v_add_f64_e32 v[151:152], v[177:178], v[151:152]
	v_add_f64_e64 v[199:200], v[215:216], -v[199:200]
	v_add_f64_e32 v[100:101], v[100:101], v[125:126]
	v_add_f64_e32 v[94:95], v[94:95], v[123:124]
	;; [unrolled: 1-line block ×3, first 2 shown]
	v_mul_f64_e32 v[119:120], s[14:15], v[159:160]
	v_mul_f64_e32 v[123:124], s[14:15], v[167:168]
	;; [unrolled: 1-line block ×5, first 2 shown]
	v_add_f64_e32 v[165:166], v[219:220], v[165:166]
	v_add_f64_e64 v[145:146], v[145:146], -v[217:218]
	v_add_f64_e64 v[131:132], v[131:132], -v[175:176]
	v_add_f64_e32 v[111:112], v[121:122], v[111:112]
	v_add_f64_e32 v[113:114], v[133:134], v[113:114]
	v_add_f64_e32 v[115:116], v[213:214], v[115:116]
	v_add_f64_e32 v[117:118], v[185:186], v[117:118]
	v_add_f64_e32 v[121:122], v[181:182], v[137:138]
	v_add_f64_e32 v[133:134], v[209:210], v[147:148]
	v_add_f64_e32 v[129:130], v[153:154], v[129:130]
	v_add_f64_e32 v[62:63], v[141:142], v[62:63]
	v_add_f64_e64 v[127:128], v[127:128], -v[139:140]
	v_mul_f64_e32 v[137:138], s[10:11], v[169:170]
	v_mul_f64_e32 v[139:140], s[14:15], v[161:162]
	;; [unrolled: 1-line block ×3, first 2 shown]
	v_add_f64_e32 v[143:144], v[179:180], v[143:144]
	v_mul_f64_e32 v[141:142], s[14:15], v[169:170]
	v_mul_f64_e32 v[153:154], s[2:3], v[169:170]
	v_add_f64_e32 v[100:101], v[100:101], v[109:110]
	v_add_f64_e32 v[94:95], v[94:95], v[107:108]
	;; [unrolled: 1-line block ×3, first 2 shown]
	v_mul_f64_e32 v[107:108], s[16:17], v[161:162]
	v_mul_f64_e32 v[135:136], s[10:11], v[161:162]
	v_add_f64_e64 v[125:126], v[125:126], -v[171:172]
	v_add_f64_e64 v[159:160], v[159:160], -v[207:208]
	v_add_f64_e32 v[161:162], v[211:212], v[167:168]
	v_add_f64_e32 v[167:168], v[197:198], v[189:190]
	v_mul_f64_e32 v[109:110], s[16:17], v[169:170]
	v_add_f64_e64 v[169:170], v[187:188], -v[195:196]
	v_add_f64_e32 v[111:112], v[165:166], v[111:112]
	v_add_f64_e32 v[113:114], v[145:146], v[113:114]
	;; [unrolled: 1-line block ×8, first 2 shown]
	v_add_f64_e64 v[119:120], v[119:120], -v[149:150]
	v_add_f64_e32 v[133:134], v[183:184], v[137:138]
	v_add_f64_e64 v[129:130], v[139:140], -v[191:192]
	v_add_f64_e32 v[100:101], v[100:101], v[105:106]
	v_add_f64_e32 v[94:95], v[94:95], v[102:103]
	;; [unrolled: 1-line block ×3, first 2 shown]
	v_add_f64_e64 v[137:138], v[107:108], -v[155:156]
	v_add_f64_e64 v[135:136], v[135:136], -v[173:174]
	v_add_f64_e32 v[127:128], v[193:194], v[141:142]
	v_add_f64_e32 v[102:103], v[205:206], v[153:154]
	v_add_f64_e64 v[105:106], v[147:148], -v[201:202]
	v_add_f64_e32 v[109:110], v[163:164], v[109:110]
	v_add_f64_e32 v[107:108], v[161:162], v[111:112]
	;; [unrolled: 1-line block ×21, first 2 shown]
	v_lshl_add_u32 v90, v231, 4, v233
	ds_store_b128 v90, v[84:87] offset:480
	ds_store_b128 v90, v[76:79] offset:560
	;; [unrolled: 1-line block ×8, first 2 shown]
	ds_store_b128 v232, v[109:112]
	ds_store_b128 v90, v[105:108] offset:80
	ds_store_b128 v90, v[64:67] offset:800
.LBB0_5:
	s_wait_alu 0xfffe
	s_or_b32 exec_lo, exec_lo, s18
	s_add_nc_u64 s[2:3], s[8:9], 0x370
	global_wb scope:SCOPE_SE
	s_wait_dscnt 0x0
	s_barrier_signal -1
	s_barrier_wait -1
	global_inv scope:SCOPE_SE
	s_clause 0x4
	global_load_b128 v[60:63], v[88:89], off offset:880
	global_load_b128 v[88:91], v234, s[2:3] offset:176
	global_load_b128 v[92:95], v234, s[2:3] offset:352
	;; [unrolled: 1-line block ×4, first 2 shown]
	ds_load_b128 v[105:108], v232
	ds_load_b128 v[109:112], v232 offset:176
	ds_load_b128 v[113:116], v232 offset:352
	;; [unrolled: 1-line block ×4, first 2 shown]
	s_mov_b32 s2, 0x134454ff
	s_mov_b32 s3, 0xbfee6f0e
	;; [unrolled: 1-line block ×3, first 2 shown]
	s_wait_alu 0xfffe
	s_mov_b32 s8, s2
	s_wait_loadcnt_dscnt 0x404
	v_mul_f64_e32 v[125:126], v[107:108], v[62:63]
	v_mul_f64_e32 v[62:63], v[105:106], v[62:63]
	s_wait_loadcnt_dscnt 0x303
	v_mul_f64_e32 v[127:128], v[111:112], v[90:91]
	v_mul_f64_e32 v[90:91], v[109:110], v[90:91]
	;; [unrolled: 3-line block ×5, first 2 shown]
	v_fma_f64 v[105:106], v[105:106], v[60:61], -v[125:126]
	v_fma_f64 v[107:108], v[107:108], v[60:61], v[62:63]
	v_fma_f64 v[60:61], v[109:110], v[88:89], -v[127:128]
	v_fma_f64 v[62:63], v[111:112], v[88:89], v[90:91]
	;; [unrolled: 2-line block ×5, first 2 shown]
	ds_store_b128 v232, v[105:108]
	ds_store_b128 v232, v[60:63] offset:176
	ds_store_b128 v232, v[88:91] offset:352
	;; [unrolled: 1-line block ×4, first 2 shown]
	global_wb scope:SCOPE_SE
	s_wait_dscnt 0x0
	s_barrier_signal -1
	s_barrier_wait -1
	global_inv scope:SCOPE_SE
	ds_load_b128 v[60:63], v232 offset:352
	ds_load_b128 v[88:91], v232 offset:528
	;; [unrolled: 1-line block ×4, first 2 shown]
	ds_load_b128 v[100:103], v232
	global_wb scope:SCOPE_SE
	s_wait_dscnt 0x0
	s_barrier_signal -1
	s_barrier_wait -1
	global_inv scope:SCOPE_SE
	v_add_f64_e32 v[105:106], v[60:61], v[88:89]
	v_add_f64_e32 v[109:110], v[62:63], v[90:91]
	;; [unrolled: 1-line block ×5, first 2 shown]
	v_add_f64_e64 v[115:116], v[94:95], -v[98:99]
	v_add_f64_e64 v[117:118], v[62:63], -v[90:91]
	v_add_f64_e32 v[119:120], v[102:103], v[94:95]
	v_add_f64_e64 v[121:122], v[92:93], -v[96:97]
	v_add_f64_e64 v[123:124], v[96:97], -v[88:89]
	;; [unrolled: 1-line block ×7, first 2 shown]
	v_fma_f64 v[105:106], v[105:106], -0.5, v[100:101]
	v_fma_f64 v[109:110], v[109:110], -0.5, v[102:103]
	;; [unrolled: 1-line block ×3, first 2 shown]
	v_add_f64_e64 v[107:108], v[60:61], -v[88:89]
	v_fma_f64 v[102:103], v[111:112], -0.5, v[102:103]
	v_add_f64_e64 v[111:112], v[92:93], -v[60:61]
	v_add_f64_e64 v[92:93], v[60:61], -v[92:93]
	v_add_f64_e32 v[60:61], v[113:114], v[60:61]
	v_add_f64_e32 v[62:63], v[119:120], v[62:63]
	v_fma_f64 v[113:114], v[115:116], s[2:3], v[105:106]
	s_wait_alu 0xfffe
	v_fma_f64 v[105:106], v[115:116], s[8:9], v[105:106]
	v_fma_f64 v[119:120], v[117:118], s[8:9], v[100:101]
	;; [unrolled: 1-line block ×7, first 2 shown]
	s_mov_b32 s2, 0x4755a5e
	s_mov_b32 s3, 0xbfe2cf23
	;; [unrolled: 1-line block ×3, first 2 shown]
	s_wait_alu 0xfffe
	s_mov_b32 s8, s2
	v_add_f64_e32 v[111:112], v[111:112], v[123:124]
	v_add_f64_e32 v[123:124], v[92:93], v[125:126]
	;; [unrolled: 1-line block ×6, first 2 shown]
	v_fma_f64 v[88:89], v[117:118], s[2:3], v[113:114]
	s_wait_alu 0xfffe
	v_fma_f64 v[90:91], v[117:118], s[8:9], v[105:106]
	v_fma_f64 v[94:95], v[115:116], s[2:3], v[119:120]
	;; [unrolled: 1-line block ×7, first 2 shown]
	s_mov_b32 s2, 0x372fe950
	s_mov_b32 s3, 0x3fd3c6ef
	v_add_f64_e32 v[60:61], v[60:61], v[96:97]
	v_add_f64_e32 v[62:63], v[62:63], v[98:99]
	s_wait_alu 0xfffe
	v_fma_f64 v[92:93], v[111:112], s[2:3], v[88:89]
	v_fma_f64 v[100:101], v[111:112], s[2:3], v[90:91]
	;; [unrolled: 1-line block ×8, first 2 shown]
	ds_store_b128 v235, v[60:63]
	ds_store_b128 v235, v[92:95] offset:16
	ds_store_b128 v235, v[88:91] offset:32
	;; [unrolled: 1-line block ×4, first 2 shown]
	global_wb scope:SCOPE_SE
	s_wait_dscnt 0x0
	s_barrier_signal -1
	s_barrier_wait -1
	global_inv scope:SCOPE_SE
	s_and_saveexec_b32 s2, vcc_lo
	s_cbranch_execz .LBB0_7
; %bb.6:
	ds_load_b128 v[60:63], v232
	ds_load_b128 v[92:95], v232 offset:80
	ds_load_b128 v[88:91], v232 offset:160
	;; [unrolled: 1-line block ×10, first 2 shown]
.LBB0_7:
	s_wait_alu 0xfffe
	s_or_b32 exec_lo, exec_lo, s2
	s_and_saveexec_b32 s16, vcc_lo
	s_cbranch_execz .LBB0_9
; %bb.8:
	s_wait_dscnt 0x9
	v_mul_f64_e32 v[105:106], v[22:23], v[92:93]
	v_mul_f64_e32 v[22:23], v[22:23], v[94:95]
	s_wait_dscnt 0x4
	v_mul_f64_e32 v[109:110], v[54:55], v[86:87]
	v_mul_f64_e32 v[54:55], v[54:55], v[84:85]
	v_mul_f64_e32 v[111:112], v[42:43], v[102:103]
	s_wait_dscnt 0x3
	v_mul_f64_e32 v[113:114], v[50:51], v[78:79]
	;; [unrolled: 4-line block ×3, first 2 shown]
	v_mul_f64_e32 v[119:120], v[26:27], v[90:91]
	s_wait_dscnt 0x1
	v_mul_f64_e32 v[121:122], v[34:35], v[70:71]
	s_wait_dscnt 0x0
	v_mul_f64_e32 v[123:124], v[30:31], v[66:67]
	v_mul_f64_e32 v[46:47], v[46:47], v[72:73]
	;; [unrolled: 1-line block ×9, first 2 shown]
	s_mov_b32 s22, 0xbb3a28a1
	s_mov_b32 s23, 0xbfe82f19
	;; [unrolled: 1-line block ×9, first 2 shown]
	s_wait_alu 0xfffe
	s_mov_b32 s28, s24
	s_mov_b32 s10, 0x7f775887
	;; [unrolled: 1-line block ×9, first 2 shown]
	v_fma_f64 v[94:95], v[20:21], v[94:95], -v[105:106]
	v_fma_f64 v[92:93], v[20:21], v[92:93], v[22:23]
	v_fma_f64 v[84:85], v[52:53], v[84:85], v[109:110]
	v_fma_f64 v[52:53], v[52:53], v[86:87], -v[54:55]
	v_fma_f64 v[54:55], v[40:41], v[100:101], v[111:112]
	v_fma_f64 v[38:39], v[48:49], v[76:77], v[113:114]
	v_fma_f64 v[42:43], v[40:41], v[102:103], -v[42:43]
	v_fma_f64 v[40:41], v[48:49], v[78:79], -v[50:51]
	v_fma_f64 v[30:31], v[44:45], v[72:73], v[117:118]
	v_fma_f64 v[50:51], v[24:25], v[88:89], v[119:120]
	;; [unrolled: 1-line block ×4, first 2 shown]
	v_fma_f64 v[34:35], v[44:45], v[74:75], -v[46:47]
	v_fma_f64 v[44:45], v[24:25], v[90:91], -v[127:128]
	v_fma_f64 v[24:25], v[32:33], v[70:71], -v[129:130]
	v_fma_f64 v[22:23], v[28:29], v[66:67], -v[131:132]
	v_fma_f64 v[80:81], v[56:57], v[80:81], v[107:108]
	v_fma_f64 v[56:57], v[56:57], v[82:83], -v[58:59]
	v_fma_f64 v[48:49], v[36:37], v[96:97], v[115:116]
	v_fma_f64 v[36:37], v[36:37], v[98:99], -v[125:126]
	s_mov_b32 s2, 0xd9c712b6
	s_mov_b32 s12, 0x8764f0ba
	;; [unrolled: 1-line block ×5, first 2 shown]
	v_add_f64_e32 v[28:29], v[62:63], v[94:95]
	v_add_f64_e32 v[32:33], v[60:61], v[92:93]
	v_add_f64_e64 v[58:59], v[54:55], -v[38:39]
	v_add_f64_e32 v[96:97], v[54:55], v[38:39]
	v_add_f64_e64 v[72:73], v[42:43], -v[40:41]
	;; [unrolled: 2-line block ×3, first 2 shown]
	v_add_f64_e64 v[68:69], v[92:93], -v[20:21]
	v_add_f64_e32 v[92:93], v[92:93], v[20:21]
	v_add_f64_e64 v[76:77], v[44:45], -v[24:25]
	v_add_f64_e64 v[78:79], v[94:95], -v[22:23]
	;; [unrolled: 1-line block ×6, first 2 shown]
	v_add_f64_e32 v[90:91], v[94:95], v[22:23]
	v_add_f64_e32 v[98:99], v[48:49], v[30:31]
	;; [unrolled: 1-line block ×9, first 2 shown]
	v_mul_f64_e32 v[102:103], s[20:21], v[58:59]
	v_mul_f64_e32 v[123:124], s[26:27], v[58:59]
	;; [unrolled: 1-line block ×4, first 2 shown]
	s_wait_alu 0xfffe
	v_mul_f64_e32 v[139:140], s[28:29], v[58:59]
	v_mul_f64_e32 v[107:108], s[24:25], v[66:67]
	;; [unrolled: 1-line block ×12, first 2 shown]
	s_mov_b32 s21, 0xbfed1bb4
	v_mul_f64_e32 v[155:156], s[18:19], v[78:79]
	s_wait_alu 0xfffe
	v_mul_f64_e32 v[175:176], s[20:21], v[78:79]
	v_mul_f64_e32 v[78:79], s[28:29], v[78:79]
	;; [unrolled: 1-line block ×15, first 2 shown]
	v_add_f64_e32 v[28:29], v[28:29], v[36:37]
	v_add_f64_e32 v[32:33], v[32:33], v[48:49]
	v_mul_f64_e32 v[48:49], s[22:23], v[68:69]
	v_mul_f64_e32 v[68:69], s[20:21], v[68:69]
	;; [unrolled: 1-line block ×8, first 2 shown]
	v_fma_f64 v[179:180], v[44:45], s[12:13], v[107:108]
	v_fma_f64 v[181:182], v[90:91], s[8:9], v[109:110]
	v_fma_f64 v[109:110], v[90:91], s[8:9], -v[109:110]
	v_fma_f64 v[197:198], v[90:91], s[14:15], v[145:146]
	v_fma_f64 v[145:146], v[90:91], s[14:15], -v[145:146]
	v_fma_f64 v[195:196], v[92:93], s[10:11], -v[135:136]
	v_fma_f64 v[135:136], v[92:93], s[10:11], v[135:136]
	v_fma_f64 v[191:192], v[92:93], s[8:9], -v[119:120]
	v_fma_f64 v[119:120], v[92:93], s[8:9], v[119:120]
	v_fma_f64 v[201:202], v[90:91], s[12:13], v[173:174]
	v_fma_f64 v[173:174], v[90:91], s[12:13], -v[173:174]
	v_fma_f64 v[189:190], v[50:51], s[12:13], -v[117:118]
	;; [unrolled: 1-line block ×3, first 2 shown]
	v_fma_f64 v[205:206], v[92:93], s[2:3], v[175:176]
	v_fma_f64 v[155:156], v[92:93], s[14:15], v[155:156]
	v_fma_f64 v[107:108], v[44:45], s[12:13], -v[107:108]
	v_fma_f64 v[117:118], v[50:51], s[12:13], v[117:118]
	v_fma_f64 v[207:208], v[50:51], s[8:9], -v[153:154]
	v_fma_f64 v[153:154], v[50:51], s[8:9], v[153:154]
	v_fma_f64 v[209:210], v[44:45], s[10:11], v[163:164]
	v_fma_f64 v[211:212], v[50:51], s[10:11], -v[171:172]
	v_fma_f64 v[163:164], v[44:45], s[10:11], -v[163:164]
	v_fma_f64 v[171:172], v[50:51], s[10:11], v[171:172]
	v_fma_f64 v[177:178], v[88:89], s[10:11], v[105:106]
	v_fma_f64 v[187:188], v[98:99], s[10:11], -v[115:116]
	v_fma_f64 v[105:106], v[88:89], s[10:11], -v[105:106]
	v_fma_f64 v[115:116], v[98:99], s[10:11], v[115:116]
	v_fma_f64 v[217:218], v[88:89], s[14:15], v[64:65]
	v_add_f64_e32 v[28:29], v[28:29], v[42:43]
	v_add_f64_e32 v[32:33], v[32:33], v[54:55]
	v_mul_f64_e32 v[42:43], s[20:21], v[66:67]
	v_mul_f64_e32 v[54:55], s[20:21], v[76:77]
	v_fma_f64 v[193:194], v[90:91], s[10:11], v[48:49]
	v_fma_f64 v[48:49], v[90:91], s[10:11], -v[48:49]
	v_fma_f64 v[203:204], v[90:91], s[2:3], -v[68:69]
	v_fma_f64 v[68:69], v[90:91], s[2:3], v[68:69]
	v_fma_f64 v[90:91], v[92:93], s[2:3], -v[175:176]
	v_fma_f64 v[175:176], v[44:45], s[8:9], v[143:144]
	v_fma_f64 v[143:144], v[44:45], s[8:9], -v[143:144]
	v_fma_f64 v[219:220], v[98:99], s[14:15], -v[74:75]
	v_add_f64_e32 v[109:110], v[62:63], v[109:110]
	v_fma_f64 v[64:65], v[88:89], s[14:15], -v[64:65]
	v_add_f64_e32 v[145:146], v[62:63], v[145:146]
	v_fma_f64 v[74:75], v[98:99], s[14:15], v[74:75]
	v_add_f64_e32 v[135:136], v[60:61], v[135:136]
	v_mul_f64_e32 v[100:101], s[18:19], v[46:47]
	v_add_f64_e32 v[119:120], v[60:61], v[119:120]
	v_mul_f64_e32 v[111:112], s[18:19], v[70:71]
	;; [unrolled: 2-line block ×3, first 2 shown]
	v_mul_f64_e32 v[157:158], s[24:25], v[46:47]
	v_mul_f64_e32 v[46:47], s[26:27], v[46:47]
	v_add_f64_e32 v[155:156], v[60:61], v[155:156]
	v_fma_f64 v[76:77], v[86:87], s[2:3], v[102:103]
	v_fma_f64 v[185:186], v[96:97], s[2:3], -v[113:114]
	v_fma_f64 v[102:103], v[86:87], s[2:3], -v[102:103]
	v_fma_f64 v[113:114], v[96:97], s[2:3], v[113:114]
	v_mul_f64_e32 v[165:166], s[24:25], v[70:71]
	v_mul_f64_e32 v[147:148], s[22:23], v[70:71]
	;; [unrolled: 1-line block ×3, first 2 shown]
	v_add_f64_e32 v[28:29], v[28:29], v[56:57]
	v_add_f64_e32 v[32:33], v[32:33], v[80:81]
	v_fma_f64 v[56:57], v[92:93], s[12:13], v[78:79]
	v_fma_f64 v[78:79], v[92:93], s[12:13], -v[78:79]
	v_fma_f64 v[80:81], v[44:45], s[14:15], v[36:37]
	v_fma_f64 v[92:93], v[50:51], s[14:15], -v[133:134]
	v_fma_f64 v[36:37], v[44:45], s[14:15], -v[36:37]
	v_fma_f64 v[133:134], v[50:51], s[14:15], v[133:134]
	v_fma_f64 v[213:214], v[44:45], s[2:3], v[42:43]
	v_fma_f64 v[215:216], v[50:51], s[2:3], -v[54:55]
	v_fma_f64 v[42:43], v[44:45], s[2:3], -v[42:43]
	v_fma_f64 v[44:45], v[50:51], s[2:3], v[54:55]
	v_add_f64_e32 v[50:51], v[62:63], v[181:182]
	v_add_f64_e32 v[181:182], v[62:63], v[193:194]
	;; [unrolled: 1-line block ×12, first 2 shown]
	v_fma_f64 v[90:91], v[98:99], s[12:13], v[131:132]
	v_fma_f64 v[203:204], v[88:89], s[8:9], v[161:162]
	v_fma_f64 v[205:206], v[98:99], s[8:9], -v[169:170]
	v_fma_f64 v[161:162], v[88:89], s[8:9], -v[161:162]
	v_fma_f64 v[169:170], v[98:99], s[8:9], v[169:170]
	v_fma_f64 v[66:67], v[82:83], s[14:15], v[100:101]
	v_fma_f64 v[183:184], v[94:95], s[14:15], -v[111:112]
	v_fma_f64 v[100:101], v[82:83], s[14:15], -v[100:101]
	v_fma_f64 v[111:112], v[94:95], s[14:15], v[111:112]
	v_add_f64_e32 v[28:29], v[28:29], v[52:53]
	v_add_f64_e32 v[32:33], v[32:33], v[84:85]
	;; [unrolled: 1-line block ×4, first 2 shown]
	v_fma_f64 v[60:61], v[88:89], s[12:13], v[125:126]
	v_fma_f64 v[84:85], v[88:89], s[12:13], -v[125:126]
	v_fma_f64 v[78:79], v[98:99], s[12:13], -v[131:132]
	v_fma_f64 v[125:126], v[88:89], s[2:3], v[141:142]
	v_fma_f64 v[131:132], v[98:99], s[2:3], -v[151:152]
	v_fma_f64 v[141:142], v[88:89], s[2:3], -v[141:142]
	v_fma_f64 v[151:152], v[98:99], s[2:3], v[151:152]
	v_add_f64_e32 v[88:89], v[107:108], v[109:110]
	v_add_f64_e32 v[50:51], v[179:180], v[50:51]
	;; [unrolled: 1-line block ×18, first 2 shown]
	v_fma_f64 v[153:154], v[86:87], s[14:15], v[159:160]
	v_fma_f64 v[155:156], v[96:97], s[14:15], -v[167:168]
	v_fma_f64 v[159:160], v[86:87], s[14:15], -v[159:160]
	v_fma_f64 v[163:164], v[96:97], s[14:15], v[167:168]
	v_fma_f64 v[167:168], v[86:87], s[10:11], v[58:59]
	v_fma_f64 v[58:59], v[86:87], s[10:11], -v[58:59]
	v_fma_f64 v[145:146], v[96:97], s[12:13], -v[149:150]
	v_fma_f64 v[149:150], v[96:97], s[12:13], v[149:150]
	v_fma_f64 v[171:172], v[96:97], s[10:11], -v[72:73]
	v_add_f64_e32 v[28:29], v[28:29], v[40:41]
	v_add_f64_e32 v[32:33], v[32:33], v[38:39]
	;; [unrolled: 1-line block ×4, first 2 shown]
	v_fma_f64 v[44:45], v[86:87], s[8:9], v[123:124]
	v_fma_f64 v[56:57], v[86:87], s[8:9], -v[123:124]
	v_fma_f64 v[123:124], v[96:97], s[8:9], v[129:130]
	v_fma_f64 v[52:53], v[96:97], s[8:9], -v[129:130]
	;; [unrolled: 2-line block ×3, first 2 shown]
	v_fma_f64 v[72:73], v[96:97], s[10:11], v[72:73]
	v_add_f64_e32 v[86:87], v[105:106], v[88:89]
	v_add_f64_e32 v[50:51], v[177:178], v[50:51]
	;; [unrolled: 1-line block ×18, first 2 shown]
	v_fma_f64 v[105:106], v[94:95], s[2:3], v[127:128]
	v_fma_f64 v[107:108], v[82:83], s[10:11], v[137:138]
	v_fma_f64 v[115:116], v[82:83], s[10:11], -v[137:138]
	v_fma_f64 v[119:120], v[82:83], s[12:13], v[157:158]
	v_fma_f64 v[125:126], v[82:83], s[12:13], -v[157:158]
	v_fma_f64 v[131:132], v[82:83], s[8:9], v[46:47]
	v_fma_f64 v[117:118], v[94:95], s[10:11], v[147:148]
	v_fma_f64 v[109:110], v[94:95], s[10:11], -v[147:148]
	v_fma_f64 v[133:134], v[94:95], s[8:9], -v[70:71]
	v_add_f64_e32 v[28:29], v[28:29], v[34:35]
	v_add_f64_e32 v[30:31], v[32:33], v[30:31]
	;; [unrolled: 1-line block ×4, first 2 shown]
	v_fma_f64 v[38:39], v[82:83], s[2:3], v[121:122]
	v_fma_f64 v[74:75], v[82:83], s[2:3], -v[121:122]
	v_fma_f64 v[82:83], v[82:83], s[8:9], -v[46:47]
	;; [unrolled: 1-line block ×3, first 2 shown]
	v_fma_f64 v[127:128], v[94:95], s[12:13], v[165:166]
	v_fma_f64 v[121:122], v[94:95], s[12:13], -v[165:166]
	v_fma_f64 v[70:71], v[94:95], s[8:9], v[70:71]
	v_add_f64_e32 v[46:47], v[76:77], v[50:51]
	v_add_f64_e32 v[44:45], v[44:45], v[60:61]
	;; [unrolled: 1-line block ×40, first 2 shown]
	v_lshl_add_u32 v64, v231, 4, v233
	v_add_f64_e32 v[22:23], v[88:89], v[22:23]
	v_add_f64_e32 v[20:21], v[90:91], v[20:21]
	;; [unrolled: 1-line block ×4, first 2 shown]
	ds_store_b128 v64, v[36:39] offset:320
	ds_store_b128 v64, v[28:31] offset:400
	;; [unrolled: 1-line block ×8, first 2 shown]
	ds_store_b128 v232, v[20:23]
	ds_store_b128 v64, v[52:55] offset:80
	ds_store_b128 v64, v[48:51] offset:800
.LBB0_9:
	s_wait_alu 0xfffe
	s_or_b32 exec_lo, exec_lo, s16
	global_wb scope:SCOPE_SE
	s_wait_dscnt 0x0
	s_barrier_signal -1
	s_barrier_wait -1
	global_inv scope:SCOPE_SE
	ds_load_b128 v[20:23], v232
	ds_load_b128 v[24:27], v232 offset:176
	ds_load_b128 v[28:31], v232 offset:352
	;; [unrolled: 1-line block ×4, first 2 shown]
	s_mov_b32 s2, 0x29e4129e
	s_mov_b32 s3, 0x3f929e41
	s_wait_dscnt 0x4
	v_mul_f64_e32 v[40:41], v[2:3], v[22:23]
	v_mul_f64_e32 v[2:3], v[2:3], v[20:21]
	s_wait_dscnt 0x3
	v_mul_f64_e32 v[42:43], v[6:7], v[26:27]
	v_mul_f64_e32 v[6:7], v[6:7], v[24:25]
	;; [unrolled: 3-line block ×5, first 2 shown]
	v_fma_f64 v[20:21], v[0:1], v[20:21], v[40:41]
	v_fma_f64 v[2:3], v[0:1], v[22:23], -v[2:3]
	v_fma_f64 v[22:23], v[4:5], v[24:25], v[42:43]
	v_fma_f64 v[6:7], v[4:5], v[26:27], -v[6:7]
	;; [unrolled: 2-line block ×5, first 2 shown]
	v_mad_co_u64_u32 v[30:31], null, s6, v104, 0
	v_mad_co_u64_u32 v[32:33], null, s4, v231, 0
	s_delay_alu instid0(VALU_DEP_1) | instskip(NEXT) | instid1(VALU_DEP_1)
	v_dual_mov_b32 v0, v31 :: v_dual_mov_b32 v1, v33
	v_mad_co_u64_u32 v[4:5], null, s7, v104, v[0:1]
	s_delay_alu instid0(VALU_DEP_1)
	v_mov_b32_e32 v31, v4
	v_mad_co_u64_u32 v[0:1], null, s5, v231, v[1:2]
	s_wait_alu 0xfffe
	v_mul_f64_e32 v[2:3], s[2:3], v[2:3]
	v_mul_f64_e32 v[4:5], s[2:3], v[22:23]
	;; [unrolled: 1-line block ×6, first 2 shown]
	v_mov_b32_e32 v33, v0
	v_mul_f64_e32 v[0:1], s[2:3], v[20:21]
	v_mul_f64_e32 v[14:15], s[2:3], v[26:27]
	v_mul_f64_e32 v[16:17], s[2:3], v[28:29]
	v_mul_f64_e32 v[18:19], s[2:3], v[18:19]
	v_lshlrev_b64_e32 v[20:21], 4, v[30:31]
	v_lshlrev_b64_e32 v[22:23], 4, v[32:33]
	s_delay_alu instid0(VALU_DEP_2) | instskip(SKIP_1) | instid1(VALU_DEP_3)
	v_add_co_u32 v20, vcc_lo, s0, v20
	s_wait_alu 0xfffd
	v_add_co_ci_u32_e32 v21, vcc_lo, s1, v21, vcc_lo
	s_mul_u64 s[0:1], s[4:5], 0xb0
	s_delay_alu instid0(VALU_DEP_2) | instskip(SKIP_1) | instid1(VALU_DEP_2)
	v_add_co_u32 v20, vcc_lo, v20, v22
	s_wait_alu 0xfffd
	v_add_co_ci_u32_e32 v21, vcc_lo, v21, v23, vcc_lo
	s_wait_alu 0xfffe
	s_delay_alu instid0(VALU_DEP_2) | instskip(SKIP_1) | instid1(VALU_DEP_2)
	v_add_co_u32 v22, vcc_lo, v20, s0
	s_wait_alu 0xfffd
	v_add_co_ci_u32_e32 v23, vcc_lo, s1, v21, vcc_lo
	s_delay_alu instid0(VALU_DEP_2) | instskip(SKIP_1) | instid1(VALU_DEP_2)
	v_add_co_u32 v24, vcc_lo, v22, s0
	s_wait_alu 0xfffd
	v_add_co_ci_u32_e32 v25, vcc_lo, s1, v23, vcc_lo
	;; [unrolled: 4-line block ×4, first 2 shown]
	s_clause 0x4
	global_store_b128 v[20:21], v[0:3], off
	global_store_b128 v[22:23], v[4:7], off
	;; [unrolled: 1-line block ×5, first 2 shown]
.LBB0_10:
	s_nop 0
	s_sendmsg sendmsg(MSG_DEALLOC_VGPRS)
	s_endpgm
	.section	.rodata,"a",@progbits
	.p2align	6, 0x0
	.amdhsa_kernel bluestein_single_back_len55_dim1_dp_op_CI_CI
		.amdhsa_group_segment_fixed_size 20240
		.amdhsa_private_segment_fixed_size 0
		.amdhsa_kernarg_size 104
		.amdhsa_user_sgpr_count 2
		.amdhsa_user_sgpr_dispatch_ptr 0
		.amdhsa_user_sgpr_queue_ptr 0
		.amdhsa_user_sgpr_kernarg_segment_ptr 1
		.amdhsa_user_sgpr_dispatch_id 0
		.amdhsa_user_sgpr_private_segment_size 0
		.amdhsa_wavefront_size32 1
		.amdhsa_uses_dynamic_stack 0
		.amdhsa_enable_private_segment 0
		.amdhsa_system_sgpr_workgroup_id_x 1
		.amdhsa_system_sgpr_workgroup_id_y 0
		.amdhsa_system_sgpr_workgroup_id_z 0
		.amdhsa_system_sgpr_workgroup_info 0
		.amdhsa_system_vgpr_workitem_id 0
		.amdhsa_next_free_vgpr 254
		.amdhsa_next_free_sgpr 36
		.amdhsa_reserve_vcc 1
		.amdhsa_float_round_mode_32 0
		.amdhsa_float_round_mode_16_64 0
		.amdhsa_float_denorm_mode_32 3
		.amdhsa_float_denorm_mode_16_64 3
		.amdhsa_fp16_overflow 0
		.amdhsa_workgroup_processor_mode 1
		.amdhsa_memory_ordered 1
		.amdhsa_forward_progress 0
		.amdhsa_round_robin_scheduling 0
		.amdhsa_exception_fp_ieee_invalid_op 0
		.amdhsa_exception_fp_denorm_src 0
		.amdhsa_exception_fp_ieee_div_zero 0
		.amdhsa_exception_fp_ieee_overflow 0
		.amdhsa_exception_fp_ieee_underflow 0
		.amdhsa_exception_fp_ieee_inexact 0
		.amdhsa_exception_int_div_zero 0
	.end_amdhsa_kernel
	.text
.Lfunc_end0:
	.size	bluestein_single_back_len55_dim1_dp_op_CI_CI, .Lfunc_end0-bluestein_single_back_len55_dim1_dp_op_CI_CI
                                        ; -- End function
	.section	.AMDGPU.csdata,"",@progbits
; Kernel info:
; codeLenInByte = 7988
; NumSgprs: 38
; NumVgprs: 254
; ScratchSize: 0
; MemoryBound: 0
; FloatMode: 240
; IeeeMode: 1
; LDSByteSize: 20240 bytes/workgroup (compile time only)
; SGPRBlocks: 4
; VGPRBlocks: 31
; NumSGPRsForWavesPerEU: 38
; NumVGPRsForWavesPerEU: 254
; Occupancy: 5
; WaveLimiterHint : 1
; COMPUTE_PGM_RSRC2:SCRATCH_EN: 0
; COMPUTE_PGM_RSRC2:USER_SGPR: 2
; COMPUTE_PGM_RSRC2:TRAP_HANDLER: 0
; COMPUTE_PGM_RSRC2:TGID_X_EN: 1
; COMPUTE_PGM_RSRC2:TGID_Y_EN: 0
; COMPUTE_PGM_RSRC2:TGID_Z_EN: 0
; COMPUTE_PGM_RSRC2:TIDIG_COMP_CNT: 0
	.text
	.p2alignl 7, 3214868480
	.fill 96, 4, 3214868480
	.type	__hip_cuid_27682c0184d3210c,@object ; @__hip_cuid_27682c0184d3210c
	.section	.bss,"aw",@nobits
	.globl	__hip_cuid_27682c0184d3210c
__hip_cuid_27682c0184d3210c:
	.byte	0                               ; 0x0
	.size	__hip_cuid_27682c0184d3210c, 1

	.ident	"AMD clang version 19.0.0git (https://github.com/RadeonOpenCompute/llvm-project roc-6.4.0 25133 c7fe45cf4b819c5991fe208aaa96edf142730f1d)"
	.section	".note.GNU-stack","",@progbits
	.addrsig
	.addrsig_sym __hip_cuid_27682c0184d3210c
	.amdgpu_metadata
---
amdhsa.kernels:
  - .args:
      - .actual_access:  read_only
        .address_space:  global
        .offset:         0
        .size:           8
        .value_kind:     global_buffer
      - .actual_access:  read_only
        .address_space:  global
        .offset:         8
        .size:           8
        .value_kind:     global_buffer
      - .actual_access:  read_only
        .address_space:  global
        .offset:         16
        .size:           8
        .value_kind:     global_buffer
      - .actual_access:  read_only
        .address_space:  global
        .offset:         24
        .size:           8
        .value_kind:     global_buffer
      - .actual_access:  read_only
        .address_space:  global
        .offset:         32
        .size:           8
        .value_kind:     global_buffer
      - .offset:         40
        .size:           8
        .value_kind:     by_value
      - .address_space:  global
        .offset:         48
        .size:           8
        .value_kind:     global_buffer
      - .address_space:  global
        .offset:         56
        .size:           8
        .value_kind:     global_buffer
      - .address_space:  global
        .offset:         64
        .size:           8
        .value_kind:     global_buffer
      - .address_space:  global
        .offset:         72
        .size:           8
        .value_kind:     global_buffer
      - .offset:         80
        .size:           4
        .value_kind:     by_value
      - .address_space:  global
        .offset:         88
        .size:           8
        .value_kind:     global_buffer
      - .address_space:  global
        .offset:         96
        .size:           8
        .value_kind:     global_buffer
    .group_segment_fixed_size: 20240
    .kernarg_segment_align: 8
    .kernarg_segment_size: 104
    .language:       OpenCL C
    .language_version:
      - 2
      - 0
    .max_flat_workgroup_size: 253
    .name:           bluestein_single_back_len55_dim1_dp_op_CI_CI
    .private_segment_fixed_size: 0
    .sgpr_count:     38
    .sgpr_spill_count: 0
    .symbol:         bluestein_single_back_len55_dim1_dp_op_CI_CI.kd
    .uniform_work_group_size: 1
    .uses_dynamic_stack: false
    .vgpr_count:     254
    .vgpr_spill_count: 0
    .wavefront_size: 32
    .workgroup_processor_mode: 1
amdhsa.target:   amdgcn-amd-amdhsa--gfx1201
amdhsa.version:
  - 1
  - 2
...

	.end_amdgpu_metadata
